;; amdgpu-corpus repo=ROCm/rocFFT kind=compiled arch=gfx1030 opt=O3
	.text
	.amdgcn_target "amdgcn-amd-amdhsa--gfx1030"
	.amdhsa_code_object_version 6
	.protected	bluestein_single_fwd_len1800_dim1_sp_op_CI_CI ; -- Begin function bluestein_single_fwd_len1800_dim1_sp_op_CI_CI
	.globl	bluestein_single_fwd_len1800_dim1_sp_op_CI_CI
	.p2align	8
	.type	bluestein_single_fwd_len1800_dim1_sp_op_CI_CI,@function
bluestein_single_fwd_len1800_dim1_sp_op_CI_CI: ; @bluestein_single_fwd_len1800_dim1_sp_op_CI_CI
; %bb.0:
	s_load_dwordx4 s[12:15], s[4:5], 0x28
	v_mul_u32_u24_e32 v1, 0x16d, v0
	v_mov_b32_e32 v65, 0
	s_mov_b32 s0, exec_lo
	v_lshrrev_b32_e32 v1, 16, v1
	v_add_nc_u32_e32 v64, s6, v1
	s_waitcnt lgkmcnt(0)
	v_cmpx_gt_u64_e64 s[12:13], v[64:65]
	s_cbranch_execz .LBB0_18
; %bb.1:
	s_clause 0x1
	s_load_dwordx4 s[8:11], s[4:5], 0x18
	s_load_dwordx4 s[0:3], s[4:5], 0x0
	v_mul_lo_u16 v1, 0xb4, v1
	s_load_dwordx2 s[4:5], s[4:5], 0x38
	v_sub_nc_u16 v0, v0, v1
	v_and_b32_e32 v100, 0xffff, v0
	v_lshlrev_b32_e32 v99, 3, v100
	s_waitcnt lgkmcnt(0)
	s_load_dwordx4 s[16:19], s[8:9], 0x0
	s_clause 0x1
	global_load_dwordx2 v[65:66], v99, s[0:1]
	global_load_dwordx2 v[69:70], v99, s[0:1] offset:1440
	v_add_co_u32 v101, s6, s0, v99
	v_add_co_ci_u32_e64 v102, null, s1, 0, s6
	v_add_nc_u32_e32 v28, 0x2c00, v99
	v_add_co_u32 v3, vcc_lo, 0x800, v101
	v_add_co_ci_u32_e32 v4, vcc_lo, 0, v102, vcc_lo
	v_add_co_u32 v7, vcc_lo, 0x1000, v101
	v_add_co_ci_u32_e32 v8, vcc_lo, 0, v102, vcc_lo
	;; [unrolled: 2-line block ×3, first 2 shown]
	s_waitcnt lgkmcnt(0)
	v_mad_u64_u32 v[1:2], null, s18, v64, 0
	v_mad_u64_u32 v[5:6], null, s16, v100, 0
	global_load_dwordx2 v[83:84], v[3:4], off offset:832
	s_mul_i32 s0, s17, 0x5a0
	s_mul_hi_u32 s1, s16, 0x5a0
	s_mul_i32 s6, s16, 0x5a0
	v_mad_u64_u32 v[11:12], null, s19, v64, v[2:3]
	v_mad_u64_u32 v[14:15], null, s17, v100, v[6:7]
	v_add_co_u32 v12, vcc_lo, 0x2000, v101
	v_add_co_ci_u32_e32 v13, vcc_lo, 0, v102, vcc_lo
	v_mov_b32_e32 v2, v11
	v_add_co_u32 v15, vcc_lo, 0x2800, v101
	v_mov_b32_e32 v6, v14
	v_add_co_ci_u32_e32 v16, vcc_lo, 0, v102, vcc_lo
	v_lshlrev_b64 v[1:2], 3, v[1:2]
	v_add_co_u32 v17, vcc_lo, 0x3000, v101
	v_add_co_ci_u32_e32 v18, vcc_lo, 0, v102, vcc_lo
	v_lshlrev_b64 v[3:4], 3, v[5:6]
	v_add_co_u32 v1, vcc_lo, s14, v1
	v_add_co_ci_u32_e32 v2, vcc_lo, s15, v2, vcc_lo
	s_add_i32 s1, s1, s0
	v_add_co_u32 v1, vcc_lo, v1, v3
	v_add_co_ci_u32_e32 v2, vcc_lo, v2, v4, vcc_lo
	s_clause 0x1
	global_load_dwordx2 v[81:82], v[7:8], off offset:224
	global_load_dwordx2 v[75:76], v[7:8], off offset:1664
	v_add_co_u32 v3, vcc_lo, v1, s6
	v_add_co_ci_u32_e32 v4, vcc_lo, s1, v2, vcc_lo
	global_load_dwordx2 v[77:78], v[9:10], off offset:1056
	v_add_co_u32 v5, vcc_lo, v3, s6
	v_add_co_ci_u32_e32 v6, vcc_lo, s1, v4, vcc_lo
	s_clause 0x1
	global_load_dwordx2 v[79:80], v[12:13], off offset:448
	global_load_dwordx2 v[67:68], v[12:13], off offset:1888
	v_add_co_u32 v7, vcc_lo, v5, s6
	v_add_co_ci_u32_e32 v8, vcc_lo, s1, v6, vcc_lo
	s_clause 0x2
	global_load_dwordx2 v[1:2], v[1:2], off
	global_load_dwordx2 v[3:4], v[3:4], off
	;; [unrolled: 1-line block ×3, first 2 shown]
	v_add_co_u32 v9, vcc_lo, v7, s6
	v_add_co_ci_u32_e32 v10, vcc_lo, s1, v8, vcc_lo
	global_load_dwordx2 v[7:8], v[7:8], off
	v_add_co_u32 v11, vcc_lo, v9, s6
	v_add_co_ci_u32_e32 v12, vcc_lo, s1, v10, vcc_lo
	global_load_dwordx2 v[9:10], v[9:10], off
	;; [unrolled: 3-line block ×5, first 2 shown]
	v_add_co_u32 v23, vcc_lo, v21, s6
	v_add_co_ci_u32_e32 v24, vcc_lo, s1, v22, vcc_lo
	global_load_dwordx2 v[71:72], v[15:16], off offset:1280
	global_load_dwordx2 v[15:16], v[21:22], off
	global_load_dwordx2 v[73:74], v[17:18], off offset:672
	global_load_dwordx2 v[17:18], v[23:24], off
	v_add_nc_u32_e32 v25, 0xa00, v99
	v_add_nc_u32_e32 v26, 0x1600, v99
	;; [unrolled: 1-line block ×3, first 2 shown]
	s_load_dwordx4 s[8:11], s[10:11], 0x0
	v_cmp_gt_u16_e32 vcc_lo, 0x78, v0
	s_waitcnt vmcnt(11)
	v_mul_f32_e32 v21, v2, v66
	s_waitcnt vmcnt(10)
	v_mul_f32_e32 v23, v4, v70
	v_mul_f32_e32 v22, v1, v66
	;; [unrolled: 1-line block ×3, first 2 shown]
	v_fmac_f32_e32 v21, v1, v65
	v_fmac_f32_e32 v23, v3, v69
	s_waitcnt vmcnt(8)
	v_mul_f32_e32 v3, v8, v82
	v_mul_f32_e32 v1, v6, v84
	v_fma_f32 v22, v2, v65, -v22
	v_mul_f32_e32 v2, v5, v84
	v_fma_f32 v24, v4, v69, -v24
	v_mul_f32_e32 v4, v7, v82
	v_fmac_f32_e32 v3, v7, v81
	v_fmac_f32_e32 v1, v5, v83
	s_waitcnt vmcnt(7)
	v_mul_f32_e32 v5, v10, v76
	v_fma_f32 v2, v6, v83, -v2
	s_waitcnt vmcnt(6)
	v_mul_f32_e32 v7, v12, v78
	v_mul_f32_e32 v6, v9, v76
	v_fma_f32 v4, v8, v81, -v4
	v_mul_f32_e32 v8, v11, v78
	v_fmac_f32_e32 v5, v9, v75
	v_fmac_f32_e32 v7, v11, v77
	v_fma_f32 v6, v10, v75, -v6
	s_waitcnt vmcnt(5)
	v_mul_f32_e32 v9, v14, v80
	v_mul_f32_e32 v10, v13, v80
	v_fma_f32 v8, v12, v77, -v8
	s_waitcnt vmcnt(4)
	v_mul_f32_e32 v11, v20, v68
	v_mul_f32_e32 v12, v19, v68
	v_fmac_f32_e32 v9, v13, v79
	v_fma_f32 v10, v14, v79, -v10
	s_waitcnt vmcnt(2)
	v_mul_f32_e32 v13, v16, v72
	v_fmac_f32_e32 v11, v19, v67
	s_waitcnt vmcnt(0)
	v_mul_f32_e32 v19, v18, v74
	v_mul_f32_e32 v29, v17, v74
	;; [unrolled: 1-line block ×3, first 2 shown]
	v_fma_f32 v12, v20, v67, -v12
	v_fmac_f32_e32 v13, v15, v71
	v_fmac_f32_e32 v19, v17, v73
	v_fma_f32 v20, v18, v73, -v29
	v_mov_b32_e32 v17, 3
	v_mul_lo_u16 v18, v0, 10
	v_fma_f32 v14, v16, v71, -v14
	ds_write2_b64 v99, v[21:22], v[23:24] offset1:180
	ds_write2_b64 v25, v[1:2], v[3:4] offset0:40 offset1:220
	ds_write2_b64 v26, v[5:6], v[7:8] offset0:16 offset1:196
	;; [unrolled: 1-line block ×4, first 2 shown]
	s_waitcnt lgkmcnt(0)
	s_barrier
	buffer_gl0_inv
	ds_read2_b64 v[1:4], v99 offset1:180
	ds_read2_b64 v[5:8], v25 offset0:40 offset1:220
	ds_read2_b64 v[9:12], v26 offset0:16 offset1:196
	;; [unrolled: 1-line block ×3, first 2 shown]
	v_lshlrev_b32_sdwa v105, v17, v18 dst_sel:DWORD dst_unused:UNUSED_PAD src0_sel:DWORD src1_sel:WORD_0
	ds_read2_b64 v[17:20], v28 offset0:32 offset1:212
	s_waitcnt lgkmcnt(0)
	s_barrier
	buffer_gl0_inv
	v_add_f32_e32 v21, v1, v5
	v_add_f32_e32 v26, v2, v6
	v_sub_f32_e32 v29, v6, v10
	v_sub_f32_e32 v30, v10, v6
	v_add_f32_e32 v31, v3, v7
	v_add_f32_e32 v32, v11, v15
	v_sub_f32_e32 v36, v11, v7
	v_sub_f32_e32 v41, v6, v18
	v_add_f32_e32 v6, v6, v18
	v_sub_f32_e32 v48, v14, v18
	v_sub_f32_e32 v50, v15, v19
	;; [unrolled: 1-line block ×5, first 2 shown]
	v_add_f32_e32 v35, v4, v8
	v_add_f32_e32 v37, v12, v16
	v_sub_f32_e32 v39, v8, v12
	v_sub_f32_e32 v40, v12, v8
	;; [unrolled: 1-line block ×3, first 2 shown]
	v_add_f32_e32 v44, v7, v19
	v_add_f32_e32 v8, v8, v20
	v_sub_f32_e32 v45, v17, v13
	v_sub_f32_e32 v46, v13, v17
	v_sub_f32_e32 v47, v18, v14
	v_sub_f32_e32 v49, v19, v15
	v_add_f32_e32 v22, v9, v13
	v_sub_f32_e32 v23, v10, v14
	v_add_f32_e32 v27, v10, v14
	v_sub_f32_e32 v28, v9, v13
	v_sub_f32_e32 v38, v11, v15
	v_add_f32_e32 v9, v21, v9
	v_add_f32_e32 v10, v26, v10
	;; [unrolled: 1-line block ×5, first 2 shown]
	v_fma_f32 v36, -0.5, v6, v2
	v_fma_f32 v6, -0.5, v32, v3
	v_sub_f32_e32 v33, v12, v16
	v_add_f32_e32 v12, v35, v12
	v_add_f32_e32 v21, v24, v45
	;; [unrolled: 1-line block ×5, first 2 shown]
	v_fma_f32 v34, -0.5, v37, v4
	v_fmac_f32_e32 v4, -0.5, v8
	v_fma_f32 v3, -0.5, v44, v3
	v_sub_f32_e32 v7, v7, v19
	v_fma_f32 v27, -0.5, v27, v2
	v_add_f32_e32 v2, v9, v13
	v_add_f32_e32 v9, v11, v15
	v_fmamk_f32 v11, v43, 0x3f737871, v6
	v_add_f32_e32 v42, v5, v17
	v_sub_f32_e32 v52, v16, v20
	v_fma_f32 v22, -0.5, v22, v1
	v_add_f32_e32 v8, v10, v14
	v_add_f32_e32 v10, v12, v16
	v_fmamk_f32 v12, v33, 0xbf737871, v3
	v_fmac_f32_e32 v3, 0x3f737871, v33
	v_fmamk_f32 v37, v38, 0x3f737871, v4
	v_fmac_f32_e32 v4, 0xbf737871, v38
	v_sub_f32_e32 v51, v20, v16
	v_fmac_f32_e32 v6, 0xbf737871, v43
	v_fmamk_f32 v16, v7, 0xbf737871, v34
	v_fmac_f32_e32 v34, 0x3f737871, v7
	v_sub_f32_e32 v5, v5, v17
	v_fmac_f32_e32 v11, 0x3f167918, v33
	v_fma_f32 v35, -0.5, v42, v1
	v_add_f32_e32 v1, v40, v52
	v_fmamk_f32 v13, v41, 0x3f737871, v22
	v_fmac_f32_e32 v22, 0xbf737871, v41
	v_fmac_f32_e32 v12, 0x3f167918, v43
	;; [unrolled: 1-line block ×5, first 2 shown]
	v_add_f32_e32 v31, v39, v51
	v_fmac_f32_e32 v6, 0xbf167918, v33
	v_fmac_f32_e32 v34, 0x3f167918, v38
	v_fmamk_f32 v15, v5, 0xbf737871, v27
	v_add_f32_e32 v17, v2, v17
	v_add_f32_e32 v9, v9, v19
	v_fmac_f32_e32 v16, 0xbf167918, v38
	v_fmac_f32_e32 v11, 0x3e9e377a, v29
	v_fmamk_f32 v14, v23, 0xbf737871, v35
	v_fmac_f32_e32 v35, 0x3f737871, v23
	v_fmamk_f32 v32, v28, 0x3f737871, v36
	v_fmac_f32_e32 v36, 0xbf737871, v28
	v_add_f32_e32 v8, v8, v18
	v_add_f32_e32 v10, v10, v20
	v_fmac_f32_e32 v13, 0x3f167918, v23
	v_fmac_f32_e32 v22, 0xbf167918, v23
	;; [unrolled: 1-line block ×11, first 2 shown]
	v_add_f32_e32 v1, v17, v9
	v_sub_f32_e32 v7, v17, v9
	v_mul_f32_e32 v17, 0x3f4f1bbd, v11
	v_mul_f32_e32 v19, 0xbf167918, v11
	v_fmac_f32_e32 v14, 0x3f167918, v41
	v_fmac_f32_e32 v35, 0xbf167918, v41
	;; [unrolled: 1-line block ×6, first 2 shown]
	v_add_f32_e32 v2, v8, v10
	v_sub_f32_e32 v8, v8, v10
	v_mul_f32_e32 v5, 0x3e9e377a, v3
	v_mul_f32_e32 v18, 0x3f737871, v37
	;; [unrolled: 1-line block ×4, first 2 shown]
	v_fmac_f32_e32 v27, 0x3f167918, v28
	v_mul_f32_e32 v9, 0x3f4f1bbd, v6
	v_mul_f32_e32 v11, 0x3f4f1bbd, v34
	v_fmac_f32_e32 v15, 0x3e9e377a, v25
	v_fmac_f32_e32 v17, 0x3f167918, v16
	;; [unrolled: 1-line block ×7, first 2 shown]
	v_fma_f32 v20, 0x3f737871, v4, -v5
	v_fmac_f32_e32 v18, 0x3e9e377a, v12
	v_fmac_f32_e32 v21, 0x3e9e377a, v37
	v_fma_f32 v24, 0xbf737871, v3, -v10
	v_fmac_f32_e32 v27, 0x3e9e377a, v25
	v_fma_f32 v23, 0x3f167918, v34, -v9
	v_fma_f32 v25, 0xbf167918, v6, -v11
	v_add_f32_e32 v3, v13, v17
	v_add_f32_e32 v4, v15, v19
	;; [unrolled: 1-line block ×8, first 2 shown]
	v_sub_f32_e32 v16, v13, v17
	v_sub_f32_e32 v18, v14, v18
	;; [unrolled: 1-line block ×8, first 2 shown]
	ds_write_b128 v105, v[1:4]
	ds_write_b128 v105, v[9:12] offset:16
	ds_write_b128 v105, v[5:8] offset:32
	;; [unrolled: 1-line block ×4, first 2 shown]
	s_waitcnt lgkmcnt(0)
	s_barrier
	buffer_gl0_inv
	ds_read_b64 v[24:25], v99
	ds_read_b64 v[34:35], v99 offset:2400
	ds_read_b64 v[32:33], v99 offset:4800
	ds_read_b64 v[30:31], v99 offset:7200
	ds_read_b64 v[28:29], v99 offset:9600
	ds_read_b64 v[26:27], v99 offset:12000
                                        ; implicit-def: $vgpr36
                                        ; implicit-def: $vgpr38
	s_and_saveexec_b32 s0, vcc_lo
	s_cbranch_execz .LBB0_3
; %bb.2:
	ds_read_b64 v[16:17], v99 offset:1440
	ds_read_b64 v[18:19], v99 offset:3840
	;; [unrolled: 1-line block ×6, first 2 shown]
.LBB0_3:
	s_or_b32 exec_lo, exec_lo, s0
	v_and_b32_e32 v41, 0xff, v100
	v_add_co_u32 v40, null, 0xb4, v100
	v_mov_b32_e32 v1, 0xcccd
	v_mul_lo_u16 v0, 0xcd, v41
	v_lshrrev_b16 v44, 11, v0
	v_mul_u32_u24_sdwa v0, v40, v1 dst_sel:DWORD dst_unused:UNUSED_PAD src0_sel:WORD_0 src1_sel:DWORD
	v_mul_lo_u16 v1, v44, 10
	v_lshrrev_b32_e32 v103, 19, v0
	v_sub_nc_u16 v0, v100, v1
	v_mul_lo_u16 v1, v103, 10
	v_and_b32_e32 v45, 0xff, v0
	v_sub_nc_u16 v104, v40, v1
	v_mad_u64_u32 v[0:1], null, v45, 40, s[2:3]
	v_mul_lo_u16 v2, v104, 40
	s_clause 0x1
	global_load_dwordx4 v[12:15], v[0:1], off
	global_load_dwordx4 v[8:11], v[0:1], off offset:16
	v_and_b32_e32 v2, 0xffff, v2
	v_add_co_u32 v42, s0, s2, v2
	v_add_co_ci_u32_e64 v43, null, s3, 0, s0
	s_clause 0x3
	global_load_dwordx2 v[87:88], v[0:1], off offset:32
	global_load_dwordx4 v[4:7], v[42:43], off
	global_load_dwordx4 v[0:3], v[42:43], off offset:16
	global_load_dwordx2 v[85:86], v[42:43], off offset:32
	v_mov_b32_e32 v42, 60
	s_waitcnt vmcnt(0) lgkmcnt(0)
	s_barrier
	buffer_gl0_inv
	v_mul_u32_u24_sdwa v42, v44, v42 dst_sel:DWORD dst_unused:UNUSED_PAD src0_sel:WORD_0 src1_sel:DWORD
	v_add_lshl_u32 v106, v42, v45, 3
	v_mul_f32_e32 v47, v35, v13
	v_mul_f32_e32 v48, v34, v13
	;; [unrolled: 1-line block ×8, first 2 shown]
	v_fma_f32 v47, v34, v12, -v47
	v_fmac_f32_e32 v48, v35, v12
	v_mul_f32_e32 v55, v27, v88
	v_mul_f32_e32 v56, v26, v88
	;; [unrolled: 1-line block ×12, first 2 shown]
	v_fma_f32 v32, v32, v14, -v49
	v_fmac_f32_e32 v50, v33, v14
	v_fma_f32 v30, v30, v8, -v51
	v_fmac_f32_e32 v52, v31, v8
	;; [unrolled: 2-line block ×4, first 2 shown]
	v_fmac_f32_e32 v42, v19, v4
	v_fma_f32 v20, v20, v6, -v58
	v_fmac_f32_e32 v45, v21, v6
	v_fma_f32 v21, v22, v0, -v59
	;; [unrolled: 2-line block ×5, first 2 shown]
	v_add_f32_e32 v23, v24, v32
	v_add_f32_e32 v27, v32, v28
	v_sub_f32_e32 v29, v50, v54
	v_add_f32_e32 v31, v25, v50
	v_add_f32_e32 v33, v50, v54
	;; [unrolled: 1-line block ×4, first 2 shown]
	v_sub_f32_e32 v36, v52, v56
	v_add_f32_e32 v37, v48, v52
	v_add_f32_e32 v38, v52, v56
	;; [unrolled: 1-line block ×6, first 2 shown]
	v_sub_f32_e32 v32, v32, v28
	v_sub_f32_e32 v30, v30, v26
	;; [unrolled: 1-line block ×6, first 2 shown]
	v_add_f32_e32 v28, v23, v28
	v_fma_f32 v58, -0.5, v27, v24
	v_add_f32_e32 v27, v31, v54
	v_fmac_f32_e32 v25, -0.5, v33
	v_add_f32_e32 v26, v34, v26
	v_fmac_f32_e32 v47, -0.5, v35
	;; [unrolled: 2-line block ×3, first 2 shown]
	v_fma_f32 v23, -0.5, v39, v16
	v_fma_f32 v24, -0.5, v50, v17
	v_fma_f32 v37, -0.5, v52, v18
	v_fma_f32 v38, -0.5, v55, v42
	v_fmamk_f32 v52, v32, 0xbf5db3d7, v25
	v_fmac_f32_e32 v25, 0x3f5db3d7, v32
	v_fmamk_f32 v39, v36, 0x3f5db3d7, v47
	v_fmac_f32_e32 v47, 0xbf5db3d7, v36
	v_fmamk_f32 v36, v30, 0xbf5db3d7, v48
	v_add_f32_e32 v32, v28, v26
	v_add_f32_e32 v33, v27, v31
	v_sub_f32_e32 v34, v28, v26
	v_sub_f32_e32 v35, v27, v31
	v_fmamk_f32 v26, v49, 0x3f5db3d7, v23
	v_fmac_f32_e32 v23, 0xbf5db3d7, v49
	v_fmamk_f32 v27, v51, 0xbf5db3d7, v24
	v_fmac_f32_e32 v24, 0x3f5db3d7, v51
	;; [unrolled: 2-line block ×4, first 2 shown]
	v_fmac_f32_e32 v48, 0x3f5db3d7, v30
	v_fmamk_f32 v50, v29, 0x3f5db3d7, v58
	v_fmac_f32_e32 v58, 0xbf5db3d7, v29
	v_mul_f32_e32 v53, 0x3f5db3d7, v36
	v_mul_f32_e32 v55, 0xbf5db3d7, v39
	v_mul_f32_e32 v29, 0x3f5db3d7, v51
	v_mul_f32_e32 v28, -0.5, v37
	v_mul_f32_e32 v30, 0xbf5db3d7, v49
	v_mul_f32_e32 v31, -0.5, v38
	v_mul_f32_e32 v54, -0.5, v47
	;; [unrolled: 1-line block ×3, first 2 shown]
	v_fmac_f32_e32 v53, 0.5, v39
	v_fmac_f32_e32 v55, 0.5, v36
	;; [unrolled: 1-line block ×3, first 2 shown]
	v_fmac_f32_e32 v28, 0x3f5db3d7, v38
	v_fmac_f32_e32 v30, 0.5, v51
	v_fmac_f32_e32 v31, 0xbf5db3d7, v37
	v_fmac_f32_e32 v54, 0x3f5db3d7, v48
	;; [unrolled: 1-line block ×3, first 2 shown]
	v_add_f32_e32 v36, v50, v53
	v_add_f32_e32 v37, v52, v55
	v_sub_f32_e32 v91, v26, v29
	v_sub_f32_e32 v93, v23, v28
	;; [unrolled: 1-line block ×4, first 2 shown]
	v_add_f32_e32 v38, v58, v54
	v_add_f32_e32 v39, v25, v56
	v_sub_f32_e32 v47, v50, v53
	v_sub_f32_e32 v49, v58, v54
	;; [unrolled: 1-line block ×4, first 2 shown]
	ds_write2_b64 v106, v[32:33], v[36:37] offset1:10
	ds_write2_b64 v106, v[38:39], v[34:35] offset0:20 offset1:30
	ds_write2_b64 v106, v[47:48], v[49:50] offset0:40 offset1:50
	s_and_saveexec_b32 s0, vcc_lo
	s_cbranch_execz .LBB0_5
; %bb.4:
	v_add_f32_e32 v17, v17, v45
	v_add_f32_e32 v25, v42, v46
	;; [unrolled: 1-line block ×4, first 2 shown]
	v_mov_b32_e32 v32, 3
	v_add_f32_e32 v20, v17, v43
	v_add_f32_e32 v25, v25, v44
	;; [unrolled: 1-line block ×5, first 2 shown]
	v_mad_u16 v31, v103, 60, v104
	v_sub_f32_e32 v19, v20, v25
	v_add_f32_e32 v21, v27, v30
	v_sub_f32_e32 v18, v16, v22
	v_add_f32_e32 v25, v20, v25
	v_add_f32_e32 v20, v26, v29
	;; [unrolled: 1-line block ×3, first 2 shown]
	v_lshlrev_b32_sdwa v22, v32, v31 dst_sel:DWORD dst_unused:UNUSED_PAD src0_sel:DWORD src1_sel:WORD_0
	v_add_f32_e32 v16, v23, v28
	ds_write2_b64 v22, v[24:25], v[20:21] offset1:10
	ds_write2_b64 v22, v[16:17], v[18:19] offset0:20 offset1:30
	ds_write2_b64 v22, v[91:92], v[93:94] offset0:40 offset1:50
.LBB0_5:
	s_or_b32 exec_lo, exec_lo, s0
	v_mul_lo_u16 v16, 0x89, v41
	s_waitcnt lgkmcnt(0)
	s_barrier
	buffer_gl0_inv
	v_mov_b32_e32 v42, 0x258
	v_lshrrev_b16 v41, 13, v16
	v_add_nc_u32_e32 v36, 0xa00, v99
	v_add_nc_u32_e32 v43, 0x1600, v99
	v_add_nc_u32_e32 v47, 0x2000, v99
	v_add_nc_u32_e32 v49, 0x2c00, v99
	v_mul_lo_u16 v16, v41, 60
	v_mul_u32_u24_sdwa v46, v41, v42 dst_sel:DWORD dst_unused:UNUSED_PAD src0_sel:WORD_0 src1_sel:DWORD
	v_add_nc_u32_e32 v56, 0xb00, v99
	v_add_nc_u32_e32 v57, 0x2400, v99
	v_add_nc_u32_e32 v108, 0x1800, v99
	v_sub_nc_u16 v16, v100, v16
	v_cmp_gt_u16_e64 s0, 60, v100
	v_and_b32_e32 v45, 0xff, v16
	v_mad_u64_u32 v[32:33], null, 0x48, v45, s[2:3]
	v_add_lshl_u32 v107, v46, v45, 3
	s_clause 0x4
	global_load_dwordx4 v[28:31], v[32:33], off offset:400
	global_load_dwordx4 v[24:27], v[32:33], off offset:416
	;; [unrolled: 1-line block ×4, first 2 shown]
	global_load_dwordx2 v[89:90], v[32:33], off offset:464
	ds_read2_b64 v[32:35], v99 offset1:180
	ds_read2_b64 v[36:39], v36 offset0:40 offset1:220
	ds_read2_b64 v[41:44], v43 offset0:16 offset1:196
	;; [unrolled: 1-line block ×4, first 2 shown]
	v_add_nc_u32_e32 v53, 0x400, v107
	v_add_nc_u32_e32 v54, 0x800, v107
	v_add_nc_u32_e32 v55, 0xc00, v107
	s_waitcnt vmcnt(0) lgkmcnt(0)
	s_barrier
	buffer_gl0_inv
	v_mul_f32_e32 v58, v35, v29
	v_mul_f32_e32 v59, v34, v29
	v_mul_f32_e32 v60, v37, v31
	v_mul_f32_e32 v61, v36, v31
	v_mul_f32_e32 v62, v39, v25
	v_mul_f32_e32 v63, v38, v25
	v_mul_f32_e32 v95, v42, v27
	v_mul_f32_e32 v96, v41, v27
	v_mul_f32_e32 v97, v44, v21
	v_mul_f32_e32 v98, v43, v21
	v_mul_f32_e32 v109, v46, v23
	v_mul_f32_e32 v110, v45, v23
	v_mul_f32_e32 v111, v48, v17
	v_mul_f32_e32 v112, v47, v17
	v_mul_f32_e32 v113, v50, v19
	v_mul_f32_e32 v114, v49, v19
	v_mul_f32_e32 v115, v52, v90
	v_mul_f32_e32 v116, v51, v90
	v_fma_f32 v58, v34, v28, -v58
	v_fmac_f32_e32 v59, v35, v28
	v_fma_f32 v34, v36, v30, -v60
	v_fmac_f32_e32 v61, v37, v30
	;; [unrolled: 2-line block ×9, first 2 shown]
	v_add_f32_e32 v43, v32, v34
	v_sub_f32_e32 v47, v34, v36
	v_sub_f32_e32 v48, v41, v38
	v_add_f32_e32 v49, v34, v41
	v_sub_f32_e32 v95, v61, v96
	v_sub_f32_e32 v97, v114, v110
	v_add_f32_e32 v113, v58, v35
	v_add_f32_e32 v115, v37, v39
	;; [unrolled: 1-line block ×4, first 2 shown]
	v_sub_f32_e32 v45, v61, v114
	v_sub_f32_e32 v50, v36, v34
	;; [unrolled: 1-line block ×3, first 2 shown]
	v_add_f32_e32 v52, v33, v61
	v_add_f32_e32 v60, v96, v110
	;; [unrolled: 1-line block ×3, first 2 shown]
	v_sub_f32_e32 v61, v96, v61
	v_sub_f32_e32 v111, v110, v114
	v_add_f32_e32 v121, v35, v42
	v_add_f32_e32 v124, v59, v63
	v_add_f32_e32 v129, v63, v116
	v_sub_f32_e32 v62, v36, v38
	v_sub_f32_e32 v117, v63, v116
	;; [unrolled: 1-line block ×6, first 2 shown]
	v_add_f32_e32 v36, v43, v36
	v_add_f32_e32 v43, v47, v48
	v_fma_f32 v48, -0.5, v49, v32
	v_add_f32_e32 v47, v95, v97
	v_add_f32_e32 v37, v113, v37
	v_fma_f32 v49, -0.5, v115, v58
	v_fma_f32 v95, -0.5, v125, v59
	v_sub_f32_e32 v118, v98, v112
	v_fma_f32 v131, -0.5, v44, v32
	v_add_f32_e32 v32, v50, v51
	v_add_f32_e32 v44, v52, v96
	v_fma_f32 v51, -0.5, v60, v33
	v_fma_f32 v50, -0.5, v109, v33
	v_add_f32_e32 v33, v61, v111
	v_fmac_f32_e32 v58, -0.5, v121
	v_add_f32_e32 v61, v124, v98
	v_fmac_f32_e32 v59, -0.5, v129
	v_sub_f32_e32 v120, v42, v39
	v_sub_f32_e32 v123, v39, v42
	;; [unrolled: 1-line block ×4, first 2 shown]
	v_add_f32_e32 v37, v37, v39
	v_fmamk_f32 v39, v117, 0x3f737871, v49
	v_fmamk_f32 v111, v35, 0xbf737871, v95
	v_sub_f32_e32 v46, v96, v110
	v_sub_f32_e32 v63, v98, v63
	;; [unrolled: 1-line block ×3, first 2 shown]
	v_add_f32_e32 v36, v36, v38
	v_add_f32_e32 v38, v44, v110
	v_fmamk_f32 v44, v118, 0xbf737871, v58
	v_fmac_f32_e32 v58, 0x3f737871, v118
	v_add_f32_e32 v61, v61, v112
	v_fmamk_f32 v112, v126, 0x3f737871, v59
	v_fmac_f32_e32 v59, 0xbf737871, v126
	v_fmac_f32_e32 v49, 0xbf737871, v117
	;; [unrolled: 1-line block ×3, first 2 shown]
	v_sub_f32_e32 v34, v34, v41
	v_add_f32_e32 v52, v119, v120
	v_add_f32_e32 v96, v127, v128
	v_fmac_f32_e32 v39, 0x3f167918, v118
	v_fmac_f32_e32 v111, 0xbf167918, v126
	v_add_f32_e32 v60, v122, v123
	v_add_f32_e32 v63, v63, v130
	v_fmamk_f32 v98, v46, 0xbf737871, v48
	v_fmac_f32_e32 v48, 0x3f737871, v46
	v_fmamk_f32 v110, v62, 0x3f737871, v50
	v_fmac_f32_e32 v50, 0xbf737871, v62
	v_fmac_f32_e32 v44, 0x3f167918, v117
	;; [unrolled: 1-line block ×7, first 2 shown]
	v_fmamk_f32 v97, v45, 0x3f737871, v131
	v_fmamk_f32 v109, v34, 0xbf737871, v51
	v_fmac_f32_e32 v39, 0x3e9e377a, v52
	v_fmac_f32_e32 v111, 0x3e9e377a, v96
	;; [unrolled: 1-line block ×4, first 2 shown]
	v_add_f32_e32 v36, v36, v41
	v_fmac_f32_e32 v98, 0x3f167918, v45
	v_fmac_f32_e32 v48, 0xbf167918, v45
	v_add_f32_e32 v38, v38, v114
	v_fmac_f32_e32 v110, 0xbf167918, v34
	v_fmac_f32_e32 v50, 0x3f167918, v34
	v_add_f32_e32 v34, v37, v42
	v_add_f32_e32 v37, v61, v116
	v_fmac_f32_e32 v44, 0x3e9e377a, v60
	v_fmac_f32_e32 v58, 0x3e9e377a, v60
	v_fmac_f32_e32 v112, 0x3e9e377a, v63
	v_fmac_f32_e32 v59, 0x3e9e377a, v63
	v_fmac_f32_e32 v49, 0x3e9e377a, v52
	v_fmac_f32_e32 v95, 0x3e9e377a, v96
	v_fmac_f32_e32 v97, 0x3f167918, v46
	v_fmac_f32_e32 v109, 0xbf167918, v62
	v_mul_f32_e32 v45, 0x3f167918, v111
	v_mul_f32_e32 v52, 0xbf167918, v39
	v_fmac_f32_e32 v131, 0xbf167918, v46
	v_fmac_f32_e32 v98, 0x3e9e377a, v32
	;; [unrolled: 1-line block ×5, first 2 shown]
	v_add_f32_e32 v32, v36, v34
	v_add_f32_e32 v33, v38, v37
	v_sub_f32_e32 v34, v36, v34
	v_sub_f32_e32 v35, v38, v37
	v_mul_f32_e32 v46, 0x3f737871, v112
	v_mul_f32_e32 v36, 0x3e9e377a, v58
	;; [unrolled: 1-line block ×4, first 2 shown]
	v_fmac_f32_e32 v51, 0x3f167918, v62
	v_mul_f32_e32 v37, 0x3f4f1bbd, v49
	v_mul_f32_e32 v41, 0x3f4f1bbd, v95
	v_fmac_f32_e32 v97, 0x3e9e377a, v43
	v_fmac_f32_e32 v109, 0x3e9e377a, v47
	;; [unrolled: 1-line block ×5, first 2 shown]
	v_fma_f32 v59, 0x3f737871, v59, -v36
	v_fmac_f32_e32 v60, 0x3e9e377a, v112
	v_fma_f32 v58, 0xbf737871, v58, -v38
	v_fmac_f32_e32 v131, 0x3e9e377a, v43
	v_fmac_f32_e32 v51, 0x3e9e377a, v47
	v_fma_f32 v61, 0x3f167918, v95, -v37
	v_fma_f32 v62, 0xbf167918, v49, -v41
	v_add_f32_e32 v36, v97, v45
	v_add_f32_e32 v37, v109, v52
	v_add_f32_e32 v38, v98, v46
	v_add_f32_e32 v41, v48, v59
	v_add_f32_e32 v39, v110, v60
	v_add_f32_e32 v42, v50, v58
	v_add_f32_e32 v43, v131, v61
	v_add_f32_e32 v44, v51, v62
	v_sub_f32_e32 v45, v97, v45
	v_sub_f32_e32 v47, v98, v46
	;; [unrolled: 1-line block ×8, first 2 shown]
	ds_write2_b64 v107, v[32:33], v[36:37] offset1:60
	ds_write2_b64 v107, v[38:39], v[41:42] offset0:120 offset1:180
	ds_write2_b64 v53, v[43:44], v[34:35] offset0:112 offset1:172
	;; [unrolled: 1-line block ×4, first 2 shown]
	s_waitcnt lgkmcnt(0)
	s_barrier
	buffer_gl0_inv
	ds_read2_b64 v[52:55], v99 offset1:180
	ds_read2_b64 v[48:51], v56 offset0:8 offset1:248
	ds_read2_b64 v[60:63], v57 offset0:48 offset1:228
	;; [unrolled: 1-line block ×3, first 2 shown]
	ds_read_b64 v[97:98], v99 offset:12480
	s_and_saveexec_b32 s1, s0
	s_cbranch_execz .LBB0_7
; %bb.6:
	ds_read_b64 v[95:96], v99 offset:4320
	ds_read_b64 v[91:92], v99 offset:9120
	;; [unrolled: 1-line block ×3, first 2 shown]
.LBB0_7:
	s_or_b32 exec_lo, exec_lo, s1
	v_lshlrev_b32_e32 v36, 4, v100
	v_lshlrev_b32_e32 v32, 4, v40
	v_add_co_u32 v33, s1, s2, v36
	v_add_co_ci_u32_e64 v34, null, s3, 0, s1
	v_add_co_u32 v35, s1, s2, v32
	v_add_co_ci_u32_e64 v37, null, s3, 0, s1
	v_add_co_u32 v32, s1, 0x1000, v33
	v_add_co_ci_u32_e64 v33, s1, 0, v34, s1
	v_add_co_u32 v34, s1, 0x1000, v35
	v_add_nc_u32_e32 v40, 0x1680, v36
	v_add_co_ci_u32_e64 v35, s1, 0, v37, s1
	v_add_co_u32 v41, s1, 0x21c, v100
	v_add_co_ci_u32_e64 v42, null, 0, 0, s1
	s_clause 0x1
	global_load_dwordx4 v[44:47], v[32:33], off offset:624
	global_load_dwordx4 v[36:39], v[34:35], off offset:624
	v_add_co_u32 v32, s1, s2, v40
	v_add_co_ci_u32_e64 v33, null, s3, 0, s1
	v_add_co_u32 v34, s1, 0xffffffc4, v100
	v_add_co_ci_u32_e64 v35, null, 0, -1, s1
	v_add_co_u32 v32, s1, 0x1000, v32
	v_add_co_ci_u32_e64 v33, s1, 0, v33, s1
	v_cndmask_b32_e64 v35, v35, v42, s0
	v_cndmask_b32_e64 v34, v34, v41, s0
	global_load_dwordx4 v[40:43], v[32:33], off offset:624
	v_lshlrev_b64 v[32:33], 4, v[34:35]
	v_add_co_u32 v32, s1, s2, v32
	v_add_co_ci_u32_e64 v33, s1, s3, v33, s1
	v_add_co_u32 v32, s1, 0x1000, v32
	v_add_co_ci_u32_e64 v33, s1, 0, v33, s1
	global_load_dwordx4 v[32:35], v[32:33], off offset:624
	s_waitcnt vmcnt(3) lgkmcnt(3)
	v_mul_f32_e32 v109, v51, v45
	v_mul_f32_e32 v110, v50, v45
	s_waitcnt lgkmcnt(2)
	v_mul_f32_e32 v111, v61, v47
	v_mul_f32_e32 v112, v60, v47
	s_waitcnt vmcnt(2) lgkmcnt(1)
	v_mul_f32_e32 v113, v57, v37
	v_mul_f32_e32 v114, v56, v37
	;; [unrolled: 1-line block ×4, first 2 shown]
	v_fma_f32 v50, v50, v44, -v109
	v_fmac_f32_e32 v110, v51, v44
	v_fma_f32 v60, v60, v46, -v111
	v_fmac_f32_e32 v112, v61, v46
	v_fma_f32 v51, v56, v36, -v113
	v_fmac_f32_e32 v114, v57, v36
	v_fma_f32 v56, v62, v38, -v115
	v_fmac_f32_e32 v116, v63, v38
	v_add_f32_e32 v62, v110, v112
	s_waitcnt vmcnt(1)
	v_mul_f32_e32 v57, v59, v41
	v_mul_f32_e32 v109, v58, v41
	s_waitcnt lgkmcnt(0)
	v_mul_f32_e32 v61, v98, v43
	v_mul_f32_e32 v111, v97, v43
	v_add_f32_e32 v63, v54, v51
	v_fma_f32 v57, v58, v40, -v57
	v_fmac_f32_e32 v109, v59, v40
	v_fma_f32 v97, v97, v42, -v61
	v_fmac_f32_e32 v111, v98, v42
	v_add_f32_e32 v58, v52, v50
	v_add_f32_e32 v59, v50, v60
	v_sub_f32_e32 v98, v110, v112
	v_add_f32_e32 v61, v53, v110
	v_sub_f32_e32 v110, v50, v60
	v_add_f32_e32 v113, v51, v56
	v_sub_f32_e32 v115, v114, v116
	v_add_f32_e32 v117, v55, v114
	v_add_f32_e32 v114, v114, v116
	v_sub_f32_e32 v118, v51, v56
	v_add_f32_e32 v60, v58, v60
	v_fma_f32 v58, -0.5, v59, v52
	s_waitcnt vmcnt(0)
	v_mul_f32_e32 v119, v92, v33
	v_mul_f32_e32 v51, v91, v33
	;; [unrolled: 1-line block ×4, first 2 shown]
	v_add_f32_e32 v61, v61, v112
	v_fma_f32 v59, -0.5, v62, v53
	v_add_f32_e32 v62, v63, v56
	v_fma_f32 v54, -0.5, v113, v54
	v_fmac_f32_e32 v55, -0.5, v114
	v_add_f32_e32 v56, v48, v57
	v_add_f32_e32 v112, v57, v97
	v_sub_f32_e32 v113, v109, v111
	v_add_f32_e32 v114, v49, v109
	v_add_f32_e32 v109, v109, v111
	v_fma_f32 v52, v91, v32, -v119
	v_fmac_f32_e32 v51, v92, v32
	v_fma_f32 v53, v93, v34, -v120
	v_fmac_f32_e32 v50, v94, v34
	v_sub_f32_e32 v57, v57, v97
	v_add_f32_e32 v97, v56, v97
	v_fma_f32 v48, -0.5, v112, v48
	v_fmac_f32_e32 v49, -0.5, v109
	v_add_f32_e32 v56, v52, v53
	v_add_f32_e32 v112, v51, v50
	v_fmamk_f32 v91, v98, 0x3f5db3d7, v58
	v_fmac_f32_e32 v58, 0xbf5db3d7, v98
	v_fmamk_f32 v92, v110, 0xbf5db3d7, v59
	v_fmac_f32_e32 v59, 0x3f5db3d7, v110
	v_add_f32_e32 v98, v114, v111
	v_sub_f32_e32 v111, v51, v50
	v_sub_f32_e32 v114, v52, v53
	v_fmamk_f32 v110, v57, 0xbf5db3d7, v49
	v_fma_f32 v56, -0.5, v56, v95
	v_fmac_f32_e32 v49, 0x3f5db3d7, v57
	v_fma_f32 v57, -0.5, v112, v96
	v_add_f32_e32 v63, v117, v116
	ds_write_b64 v99, v[91:92] offset:4800
	ds_write_b64 v99, v[58:59] offset:9600
	v_fmamk_f32 v58, v111, 0x3f5db3d7, v56
	v_fmac_f32_e32 v56, 0xbf5db3d7, v111
	v_fmamk_f32 v59, v114, 0xbf5db3d7, v57
	v_fmac_f32_e32 v57, 0x3f5db3d7, v114
	;; [unrolled: 2-line block ×5, first 2 shown]
	ds_write2_b64 v99, v[60:61], v[62:63] offset1:180
	ds_write_b64 v99, v[54:55] offset:11040
	ds_write_b64 v99, v[97:98] offset:2880
	ds_write2_b64 v108, v[93:94], v[109:110] offset0:12 offset1:192
	ds_write_b64 v99, v[48:49] offset:12480
	s_and_saveexec_b32 s1, s0
	s_cbranch_execz .LBB0_9
; %bb.8:
	v_add_f32_e32 v48, v96, v51
	v_add_f32_e32 v51, v95, v52
	v_add_f32_e32 v49, v48, v50
	v_add_f32_e32 v48, v51, v53
	ds_write_b64 v99, v[58:59] offset:9120
	ds_write_b64 v99, v[48:49] offset:4320
	ds_write_b64 v99, v[56:57] offset:13920
.LBB0_9:
	s_or_b32 exec_lo, exec_lo, s1
	v_add_co_u32 v48, s1, 0x3800, v101
	v_add_co_ci_u32_e64 v49, s1, 0, v102, s1
	v_add_co_u32 v50, s1, 0x4000, v101
	v_add_co_ci_u32_e64 v51, s1, 0, v102, s1
	;; [unrolled: 2-line block ×4, first 2 shown]
	s_waitcnt lgkmcnt(0)
	s_barrier
	buffer_gl0_inv
	s_clause 0x3
	global_load_dwordx2 v[60:61], v[48:49], off offset:64
	global_load_dwordx2 v[95:96], v[50:51], off offset:896
	;; [unrolled: 1-line block ×4, first 2 shown]
	v_add_co_u32 v48, s1, 0x5000, v101
	v_add_co_ci_u32_e64 v49, s1, 0, v102, s1
	v_add_co_u32 v50, s1, 0x5800, v101
	v_add_co_ci_u32_e64 v51, s1, 0, v102, s1
	v_add_co_u32 v62, s1, 0x6000, v101
	v_add_co_ci_u32_e64 v63, s1, 0, v102, s1
	s_clause 0x2
	global_load_dwordx2 v[108:109], v[52:53], off offset:1728
	global_load_dwordx2 v[110:111], v[48:49], off offset:1120
	;; [unrolled: 1-line block ×3, first 2 shown]
	v_add_co_u32 v48, s1, 0x6800, v101
	v_add_co_ci_u32_e64 v49, s1, 0, v102, s1
	s_clause 0x2
	global_load_dwordx2 v[101:102], v[50:51], off offset:1952
	global_load_dwordx2 v[114:115], v[62:63], off offset:1344
	;; [unrolled: 1-line block ×3, first 2 shown]
	ds_read2_b64 v[48:51], v99 offset1:180
	v_add_nc_u32_e32 v119, 0xa00, v99
	v_add_nc_u32_e32 v120, 0x1600, v99
	;; [unrolled: 1-line block ×4, first 2 shown]
	s_waitcnt vmcnt(9) lgkmcnt(0)
	v_mul_f32_e32 v52, v49, v61
	v_mul_f32_e32 v53, v48, v61
	s_waitcnt vmcnt(6)
	v_mul_f32_e32 v62, v51, v55
	v_mul_f32_e32 v61, v50, v55
	v_fma_f32 v52, v48, v60, -v52
	v_fmac_f32_e32 v53, v49, v60
	v_fma_f32 v60, v50, v54, -v62
	v_fmac_f32_e32 v61, v51, v54
	ds_write2_b64 v99, v[52:53], v[60:61] offset1:180
	ds_read2_b64 v[48:51], v119 offset0:40 offset1:220
	ds_read2_b64 v[52:55], v120 offset0:16 offset1:196
	;; [unrolled: 1-line block ×4, first 2 shown]
	s_waitcnt lgkmcnt(3)
	v_mul_f32_e32 v123, v49, v96
	v_mul_f32_e32 v118, v48, v96
	v_mul_f32_e32 v124, v51, v98
	v_mul_f32_e32 v96, v50, v98
	s_waitcnt vmcnt(5) lgkmcnt(2)
	v_mul_f32_e32 v125, v53, v109
	v_mul_f32_e32 v98, v52, v109
	s_waitcnt vmcnt(4)
	v_mul_f32_e32 v126, v55, v111
	v_mul_f32_e32 v109, v54, v111
	s_waitcnt vmcnt(3) lgkmcnt(1)
	v_mul_f32_e32 v127, v61, v113
	v_mul_f32_e32 v111, v60, v113
	s_waitcnt vmcnt(2)
	v_mul_f32_e32 v128, v63, v102
	v_mul_f32_e32 v113, v62, v102
	;; [unrolled: 6-line block ×3, first 2 shown]
	v_fma_f32 v117, v48, v95, -v123
	v_fmac_f32_e32 v118, v49, v95
	v_fma_f32 v95, v50, v97, -v124
	v_fmac_f32_e32 v96, v51, v97
	v_fma_f32 v97, v52, v108, -v125
	v_fmac_f32_e32 v98, v53, v108
	v_fma_f32 v108, v54, v110, -v126
	v_fmac_f32_e32 v109, v55, v110
	v_fma_f32 v110, v60, v112, -v127
	v_fmac_f32_e32 v111, v61, v112
	v_fma_f32 v112, v62, v101, -v128
	v_fmac_f32_e32 v113, v63, v101
	v_fma_f32 v101, v91, v114, -v129
	v_fmac_f32_e32 v102, v92, v114
	v_fma_f32 v114, v93, v116, -v130
	v_fmac_f32_e32 v115, v94, v116
	ds_write2_b64 v119, v[117:118], v[95:96] offset0:40 offset1:220
	ds_write2_b64 v120, v[97:98], v[108:109] offset0:16 offset1:196
	;; [unrolled: 1-line block ×4, first 2 shown]
	s_waitcnt lgkmcnt(0)
	s_barrier
	buffer_gl0_inv
	ds_read2_b64 v[48:51], v99 offset1:180
	ds_read2_b64 v[52:55], v119 offset0:40 offset1:220
	ds_read2_b64 v[60:63], v120 offset0:16 offset1:196
	ds_read2_b64 v[91:94], v121 offset0:56 offset1:236
	ds_read2_b64 v[95:98], v122 offset0:32 offset1:212
	s_waitcnt lgkmcnt(0)
	s_barrier
	buffer_gl0_inv
	v_add_f32_e32 v101, v48, v52
	v_sub_f32_e32 v110, v52, v60
	v_add_f32_e32 v102, v60, v91
	v_sub_f32_e32 v108, v53, v96
	v_sub_f32_e32 v111, v95, v91
	v_add_f32_e32 v112, v52, v95
	v_sub_f32_e32 v113, v60, v52
	v_sub_f32_e32 v114, v91, v95
	v_add_f32_e32 v115, v49, v53
	v_add_f32_e32 v116, v61, v92
	v_sub_f32_e32 v118, v53, v61
	v_add_f32_e32 v120, v53, v96
	v_sub_f32_e32 v53, v61, v53
	v_sub_f32_e32 v121, v92, v96
	v_add_f32_e32 v122, v50, v54
	v_add_f32_e32 v123, v62, v93
	v_add_f32_e32 v132, v63, v94
	v_add_f32_e32 v136, v55, v98
	v_sub_f32_e32 v117, v60, v91
	v_sub_f32_e32 v124, v55, v98
	;; [unrolled: 1-line block ×3, first 2 shown]
	v_add_f32_e32 v128, v54, v97
	v_sub_f32_e32 v129, v62, v54
	v_sub_f32_e32 v54, v54, v97
	;; [unrolled: 1-line block ×3, first 2 shown]
	v_add_f32_e32 v60, v101, v60
	v_fma_f32 v101, -0.5, v102, v48
	v_add_f32_e32 v102, v110, v111
	v_fma_f32 v110, -0.5, v112, v48
	;; [unrolled: 2-line block ×3, first 2 shown]
	v_fma_f32 v113, -0.5, v120, v49
	v_add_f32_e32 v49, v53, v121
	v_add_f32_e32 v53, v122, v62
	v_fma_f32 v62, -0.5, v123, v50
	v_fma_f32 v116, -0.5, v132, v51
	v_sub_f32_e32 v127, v97, v93
	v_add_f32_e32 v131, v51, v55
	v_fmac_f32_e32 v51, -0.5, v136
	v_sub_f32_e32 v109, v61, v92
	v_sub_f32_e32 v119, v96, v92
	;; [unrolled: 1-line block ×5, first 2 shown]
	v_add_f32_e32 v60, v60, v91
	v_fmamk_f32 v91, v124, 0xbf737871, v62
	v_fmamk_f32 v123, v54, 0x3f737871, v116
	v_sub_f32_e32 v55, v63, v55
	v_sub_f32_e32 v137, v94, v98
	v_add_f32_e32 v61, v115, v61
	v_add_f32_e32 v114, v126, v127
	v_fma_f32 v50, -0.5, v128, v50
	v_fmamk_f32 v126, v133, 0xbf737871, v51
	v_fmac_f32_e32 v51, 0x3f737871, v133
	v_add_f32_e32 v63, v131, v63
	v_fmac_f32_e32 v116, 0xbf737871, v54
	v_sub_f32_e32 v52, v52, v95
	v_add_f32_e32 v112, v118, v119
	v_add_f32_e32 v118, v134, v135
	v_fmamk_f32 v120, v109, 0x3f737871, v110
	v_fmac_f32_e32 v110, 0xbf737871, v109
	v_fmac_f32_e32 v91, 0xbf167918, v125
	v_fmac_f32_e32 v123, 0x3f167918, v133
	v_sub_f32_e32 v130, v93, v97
	v_add_f32_e32 v55, v55, v137
	v_fmamk_f32 v119, v108, 0xbf737871, v101
	v_fmac_f32_e32 v101, 0x3f737871, v108
	v_add_f32_e32 v61, v61, v92
	v_fmamk_f32 v122, v117, 0xbf737871, v113
	v_fmac_f32_e32 v113, 0x3f737871, v117
	;; [unrolled: 3-line block ×3, first 2 shown]
	v_fmac_f32_e32 v126, 0x3f167918, v54
	v_fmac_f32_e32 v51, 0xbf167918, v54
	v_fmac_f32_e32 v62, 0x3f737871, v124
	v_add_f32_e32 v63, v63, v94
	v_fmac_f32_e32 v116, 0xbf167918, v133
	v_fmamk_f32 v121, v52, 0x3f737871, v111
	v_fmac_f32_e32 v120, 0xbf167918, v108
	v_fmac_f32_e32 v110, 0x3f167918, v108
	;; [unrolled: 1-line block ×4, first 2 shown]
	v_add_f32_e32 v115, v129, v130
	v_fmac_f32_e32 v111, 0xbf737871, v52
	v_add_f32_e32 v93, v60, v95
	v_fmac_f32_e32 v119, 0xbf167918, v109
	v_fmac_f32_e32 v101, 0x3f167918, v109
	;; [unrolled: 1-line block ×4, first 2 shown]
	v_add_f32_e32 v52, v53, v97
	v_fmac_f32_e32 v92, 0xbf167918, v124
	v_fmac_f32_e32 v50, 0x3f167918, v124
	;; [unrolled: 1-line block ×4, first 2 shown]
	v_add_f32_e32 v94, v61, v96
	v_fmac_f32_e32 v62, 0x3f167918, v125
	v_add_f32_e32 v53, v63, v98
	v_fmac_f32_e32 v116, 0x3e9e377a, v118
	v_fmac_f32_e32 v121, 0x3f167918, v117
	;; [unrolled: 1-line block ×4, first 2 shown]
	v_mul_f32_e32 v48, 0xbf167918, v123
	v_mul_f32_e32 v55, 0x3f167918, v91
	v_fmac_f32_e32 v119, 0x3e9e377a, v102
	v_fmac_f32_e32 v101, 0x3e9e377a, v102
	;; [unrolled: 1-line block ×6, first 2 shown]
	v_add_f32_e32 v60, v93, v52
	v_sub_f32_e32 v93, v93, v52
	v_mul_f32_e32 v49, 0xbf737871, v126
	v_mul_f32_e32 v52, 0xbf737871, v51
	;; [unrolled: 1-line block ×4, first 2 shown]
	v_fmac_f32_e32 v111, 0xbf167918, v117
	v_fmac_f32_e32 v62, 0x3e9e377a, v114
	v_add_f32_e32 v61, v94, v53
	v_sub_f32_e32 v94, v94, v53
	v_mul_f32_e32 v53, 0xbf167918, v116
	v_mul_f32_e32 v109, 0xbf4f1bbd, v116
	v_fmac_f32_e32 v121, 0x3e9e377a, v112
	v_fmac_f32_e32 v48, 0x3f4f1bbd, v91
	;; [unrolled: 1-line block ×10, first 2 shown]
	v_add_f32_e32 v62, v119, v48
	v_add_f32_e32 v63, v121, v55
	;; [unrolled: 1-line block ×8, first 2 shown]
	v_sub_f32_e32 v48, v119, v48
	v_sub_f32_e32 v50, v120, v49
	;; [unrolled: 1-line block ×8, first 2 shown]
	ds_write_b128 v105, v[60:63]
	ds_write_b128 v105, v[95:98] offset:16
	ds_write_b128 v105, v[91:94] offset:32
	;; [unrolled: 1-line block ×4, first 2 shown]
	s_waitcnt lgkmcnt(0)
	s_barrier
	buffer_gl0_inv
	ds_read_b64 v[60:61], v99
	ds_read_b64 v[97:98], v99 offset:2400
	ds_read_b64 v[95:96], v99 offset:4800
	ds_read_b64 v[93:94], v99 offset:7200
	ds_read_b64 v[91:92], v99 offset:9600
	ds_read_b64 v[62:63], v99 offset:12000
	s_and_saveexec_b32 s1, vcc_lo
	s_cbranch_execz .LBB0_11
; %bb.10:
	ds_read_b64 v[48:49], v99 offset:1440
	ds_read_b64 v[50:51], v99 offset:3840
	;; [unrolled: 1-line block ×6, first 2 shown]
.LBB0_11:
	s_or_b32 exec_lo, exec_lo, s1
	s_waitcnt lgkmcnt(4)
	v_mul_f32_e32 v101, v13, v98
	v_mul_f32_e32 v13, v13, v97
	s_waitcnt lgkmcnt(3)
	v_mul_f32_e32 v102, v15, v96
	v_mul_f32_e32 v15, v15, v95
	s_waitcnt lgkmcnt(0)
	v_fmac_f32_e32 v101, v12, v97
	v_fma_f32 v12, v12, v98, -v13
	v_mul_f32_e32 v13, v9, v94
	v_fmac_f32_e32 v102, v14, v95
	v_mul_f32_e32 v9, v9, v93
	v_fma_f32 v14, v14, v96, -v15
	v_mul_f32_e32 v15, v11, v92
	v_mul_f32_e32 v11, v11, v91
	v_fmac_f32_e32 v13, v8, v93
	v_fma_f32 v93, v8, v94, -v9
	v_mul_f32_e32 v94, v88, v63
	v_fmac_f32_e32 v15, v10, v91
	v_mul_f32_e32 v9, v88, v62
	v_fma_f32 v10, v10, v92, -v11
	v_mul_f32_e32 v11, v5, v50
	v_mul_f32_e32 v8, v5, v51
	v_fmac_f32_e32 v94, v87, v62
	v_fma_f32 v62, v87, v63, -v9
	v_mul_f32_e32 v5, v7, v53
	v_mul_f32_e32 v9, v7, v52
	v_fma_f32 v7, v4, v51, -v11
	v_mul_f32_e32 v11, v1, v54
	v_fmac_f32_e32 v8, v4, v50
	v_mul_f32_e32 v4, v1, v55
	v_fmac_f32_e32 v5, v6, v52
	v_fma_f32 v6, v6, v53, -v9
	v_mul_f32_e32 v1, v3, v59
	v_mul_f32_e32 v9, v3, v58
	v_fma_f32 v3, v0, v55, -v11
	v_add_f32_e32 v11, v102, v15
	v_sub_f32_e32 v51, v14, v10
	v_add_f32_e32 v52, v61, v14
	v_add_f32_e32 v50, v60, v102
	;; [unrolled: 1-line block ×3, first 2 shown]
	v_fma_f32 v11, -0.5, v11, v60
	v_fmac_f32_e32 v4, v0, v54
	v_fmac_f32_e32 v1, v2, v58
	v_add_f32_e32 v50, v50, v15
	v_fmac_f32_e32 v61, -0.5, v14
	v_fmamk_f32 v53, v51, 0xbf5db3d7, v11
	v_fmac_f32_e32 v11, 0x3f5db3d7, v51
	v_add_f32_e32 v51, v52, v10
	v_add_f32_e32 v10, v93, v62
	v_sub_f32_e32 v14, v102, v15
	v_add_f32_e32 v15, v13, v94
	v_add_f32_e32 v52, v12, v93
	v_fma_f32 v2, v2, v59, -v9
	v_fmac_f32_e32 v12, -0.5, v10
	v_sub_f32_e32 v10, v13, v94
	v_add_f32_e32 v13, v101, v13
	v_fmac_f32_e32 v101, -0.5, v15
	v_sub_f32_e32 v15, v93, v62
	v_mul_f32_e32 v9, v86, v56
	v_fmamk_f32 v55, v10, 0x3f5db3d7, v12
	v_fmamk_f32 v54, v14, 0x3f5db3d7, v61
	v_fmac_f32_e32 v61, 0xbf5db3d7, v14
	v_fmac_f32_e32 v12, 0xbf5db3d7, v10
	v_add_f32_e32 v10, v13, v94
	v_fmamk_f32 v13, v15, 0xbf5db3d7, v101
	v_mul_f32_e32 v14, 0xbf5db3d7, v55
	v_mul_f32_e32 v0, v86, v57
	v_fma_f32 v9, v85, v57, -v9
	v_fmac_f32_e32 v101, 0x3f5db3d7, v15
	v_mul_f32_e32 v15, 0xbf5db3d7, v12
	v_fmac_f32_e32 v14, 0.5, v13
	v_fmac_f32_e32 v0, v85, v56
	v_add_f32_e32 v52, v52, v62
	v_mul_f32_e32 v55, 0.5, v55
	v_fmac_f32_e32 v15, -0.5, v101
	v_add_f32_e32 v58, v53, v14
	v_sub_f32_e32 v87, v53, v14
	v_add_f32_e32 v14, v3, v9
	v_add_f32_e32 v56, v50, v10
	;; [unrolled: 1-line block ×3, first 2 shown]
	v_sub_f32_e32 v85, v50, v10
	v_sub_f32_e32 v60, v11, v15
	v_add_f32_e32 v15, v4, v0
	v_fma_f32 v50, -0.5, v14, v7
	v_sub_f32_e32 v14, v4, v0
	v_mul_f32_e32 v91, -0.5, v12
	v_fmac_f32_e32 v55, 0x3f5db3d7, v13
	v_add_f32_e32 v57, v51, v52
	v_add_f32_e32 v12, v5, v1
	v_sub_f32_e32 v86, v51, v52
	v_add_f32_e32 v13, v6, v2
	v_fma_f32 v52, -0.5, v15, v8
	v_sub_f32_e32 v15, v3, v9
	v_fmamk_f32 v53, v14, 0x3f5db3d7, v50
	v_fmac_f32_e32 v50, 0xbf5db3d7, v14
	v_add_f32_e32 v59, v54, v55
	v_fma_f32 v10, -0.5, v12, v48
	v_sub_f32_e32 v12, v6, v2
	v_sub_f32_e32 v88, v54, v55
	v_fma_f32 v13, -0.5, v13, v49
	v_sub_f32_e32 v51, v5, v1
	v_fmamk_f32 v92, v15, 0xbf5db3d7, v52
	v_fmac_f32_e32 v52, 0x3f5db3d7, v15
	v_mul_f32_e32 v14, 0xbf5db3d7, v53
	v_mul_f32_e32 v15, 0xbf5db3d7, v50
	v_mul_f32_e32 v54, 0.5, v53
	v_mul_f32_e32 v55, -0.5, v50
	v_fmamk_f32 v11, v12, 0xbf5db3d7, v10
	v_fmac_f32_e32 v10, 0x3f5db3d7, v12
	v_fmamk_f32 v12, v51, 0x3f5db3d7, v13
	v_fmac_f32_e32 v13, 0xbf5db3d7, v51
	v_fmac_f32_e32 v14, 0.5, v92
	v_fmac_f32_e32 v15, -0.5, v52
	v_fmac_f32_e32 v54, 0x3f5db3d7, v92
	v_fmac_f32_e32 v55, 0x3f5db3d7, v52
	;; [unrolled: 1-line block ×3, first 2 shown]
	v_sub_f32_e32 v50, v11, v14
	v_sub_f32_e32 v52, v10, v15
	;; [unrolled: 1-line block ×4, first 2 shown]
	v_add_f32_e32 v63, v61, v91
	v_sub_f32_e32 v61, v61, v91
	s_barrier
	buffer_gl0_inv
	ds_write2_b64 v106, v[56:57], v[58:59] offset1:10
	ds_write2_b64 v106, v[62:63], v[85:86] offset0:20 offset1:30
	ds_write2_b64 v106, v[87:88], v[60:61] offset0:40 offset1:50
	s_and_saveexec_b32 s1, vcc_lo
	s_cbranch_execz .LBB0_13
; %bb.12:
	v_add_f32_e32 v6, v49, v6
	v_add_f32_e32 v3, v7, v3
	;; [unrolled: 1-line block ×9, first 2 shown]
	v_mad_u16 v9, v103, 60, v104
	v_mov_b32_e32 v13, 3
	v_sub_f32_e32 v3, v6, v7
	v_sub_f32_e32 v2, v8, v0
	v_add_f32_e32 v5, v12, v54
	v_add_f32_e32 v7, v6, v7
	;; [unrolled: 1-line block ×4, first 2 shown]
	v_lshlrev_b32_sdwa v8, v13, v9 dst_sel:DWORD dst_unused:UNUSED_PAD src0_sel:DWORD src1_sel:WORD_0
	v_add_f32_e32 v0, v10, v15
	ds_write2_b64 v8, v[6:7], v[4:5] offset1:10
	ds_write2_b64 v8, v[0:1], v[2:3] offset0:20 offset1:30
	ds_write2_b64 v8, v[50:51], v[52:53] offset0:40 offset1:50
.LBB0_13:
	s_or_b32 exec_lo, exec_lo, s1
	s_waitcnt lgkmcnt(0)
	s_barrier
	buffer_gl0_inv
	ds_read2_b64 v[0:3], v99 offset1:180
	v_add_nc_u32_e32 v4, 0xa00, v99
	v_add_nc_u32_e32 v8, 0x1600, v99
	;; [unrolled: 1-line block ×4, first 2 shown]
	ds_read2_b64 v[4:7], v4 offset0:40 offset1:220
	ds_read2_b64 v[8:11], v8 offset0:16 offset1:196
	;; [unrolled: 1-line block ×4, first 2 shown]
	s_waitcnt lgkmcnt(0)
	s_barrier
	buffer_gl0_inv
	v_mul_f32_e32 v49, v29, v3
	v_mul_f32_e32 v29, v29, v2
	v_fmac_f32_e32 v49, v28, v2
	v_fma_f32 v3, v28, v3, -v29
	v_mul_f32_e32 v2, v31, v5
	v_mul_f32_e32 v28, v31, v4
	;; [unrolled: 1-line block ×7, first 2 shown]
	v_fmac_f32_e32 v2, v30, v4
	v_fma_f32 v4, v30, v5, -v28
	v_fma_f32 v5, v24, v7, -v25
	v_mul_f32_e32 v7, v23, v12
	v_mul_f32_e32 v21, v21, v10
	v_fmac_f32_e32 v31, v26, v8
	v_fmac_f32_e32 v48, v20, v10
	;; [unrolled: 1-line block ×3, first 2 shown]
	v_mul_f32_e32 v10, v19, v54
	v_fma_f32 v7, v22, v13, -v7
	v_mul_f32_e32 v13, v19, v55
	v_mul_f32_e32 v27, v27, v8
	v_add_f32_e32 v12, v31, v58
	v_fma_f32 v10, v18, v55, -v10
	v_fmac_f32_e32 v29, v24, v6
	v_fmac_f32_e32 v13, v18, v54
	v_fma_f32 v6, v26, v9, -v27
	v_mul_f32_e32 v8, v17, v15
	v_fma_f32 v9, v20, v11, -v21
	v_mul_f32_e32 v11, v17, v14
	v_add_f32_e32 v17, v0, v2
	v_fma_f32 v19, -0.5, v12, v0
	v_sub_f32_e32 v12, v4, v10
	v_sub_f32_e32 v18, v2, v31
	;; [unrolled: 1-line block ×3, first 2 shown]
	v_add_f32_e32 v21, v2, v13
	v_fmac_f32_e32 v8, v16, v14
	v_fma_f32 v11, v16, v15, -v11
	v_add_f32_e32 v15, v17, v31
	v_fmamk_f32 v16, v12, 0xbf737871, v19
	v_sub_f32_e32 v17, v6, v7
	v_mul_f32_e32 v22, v90, v56
	v_add_f32_e32 v18, v18, v20
	v_fma_f32 v20, -0.5, v21, v0
	v_fmac_f32_e32 v19, 0x3f737871, v12
	v_add_f32_e32 v24, v1, v4
	v_fmac_f32_e32 v16, 0xbf167918, v17
	v_fma_f32 v0, v89, v57, -v22
	v_fmamk_f32 v21, v17, 0x3f737871, v20
	v_sub_f32_e32 v22, v31, v2
	v_sub_f32_e32 v23, v58, v13
	v_fmac_f32_e32 v19, 0x3f167918, v17
	v_add_f32_e32 v25, v6, v7
	v_fmac_f32_e32 v20, 0xbf737871, v17
	v_add_f32_e32 v17, v24, v6
	v_add_f32_e32 v15, v15, v58
	v_fmac_f32_e32 v21, 0xbf167918, v12
	v_add_f32_e32 v22, v22, v23
	v_fma_f32 v23, -0.5, v25, v1
	v_sub_f32_e32 v2, v2, v13
	v_fmac_f32_e32 v20, 0x3f167918, v12
	v_add_f32_e32 v12, v17, v7
	v_add_f32_e32 v17, v4, v10
	v_mul_f32_e32 v14, v90, v57
	v_add_f32_e32 v15, v15, v13
	v_fmac_f32_e32 v16, 0x3e9e377a, v18
	v_fmac_f32_e32 v19, 0x3e9e377a, v18
	v_fmamk_f32 v13, v2, 0x3f737871, v23
	v_sub_f32_e32 v18, v31, v58
	v_sub_f32_e32 v24, v4, v6
	;; [unrolled: 1-line block ×3, first 2 shown]
	v_fma_f32 v17, -0.5, v17, v1
	v_fmac_f32_e32 v23, 0xbf737871, v2
	v_sub_f32_e32 v4, v6, v4
	v_sub_f32_e32 v6, v7, v10
	v_add_f32_e32 v7, v49, v29
	v_fmac_f32_e32 v14, v89, v56
	v_fmac_f32_e32 v13, 0x3f167918, v18
	v_add_f32_e32 v1, v24, v25
	v_fmamk_f32 v24, v18, 0xbf737871, v17
	v_fmac_f32_e32 v23, 0xbf167918, v18
	v_add_f32_e32 v4, v4, v6
	v_fmac_f32_e32 v17, 0x3f737871, v18
	v_add_f32_e32 v6, v7, v48
	v_add_f32_e32 v7, v48, v8
	v_fmac_f32_e32 v13, 0x3e9e377a, v1
	v_fmac_f32_e32 v24, 0x3f167918, v2
	;; [unrolled: 1-line block ×4, first 2 shown]
	v_add_f32_e32 v1, v6, v8
	v_fma_f32 v7, -0.5, v7, v49
	v_add_f32_e32 v2, v29, v14
	v_sub_f32_e32 v6, v5, v0
	v_fmac_f32_e32 v21, 0x3e9e377a, v22
	v_fmac_f32_e32 v20, 0x3e9e377a, v22
	v_add_f32_e32 v22, v12, v10
	v_fmac_f32_e32 v24, 0x3e9e377a, v4
	v_fmac_f32_e32 v17, 0x3e9e377a, v4
	v_add_f32_e32 v10, v1, v14
	v_sub_f32_e32 v1, v9, v11
	v_fmac_f32_e32 v49, -0.5, v2
	v_fmamk_f32 v12, v6, 0xbf737871, v7
	v_sub_f32_e32 v2, v29, v48
	v_sub_f32_e32 v4, v14, v8
	v_fmac_f32_e32 v7, 0x3f737871, v6
	v_fmamk_f32 v18, v1, 0x3f737871, v49
	v_fmac_f32_e32 v12, 0xbf167918, v1
	v_sub_f32_e32 v25, v48, v29
	v_add_f32_e32 v2, v2, v4
	v_fmac_f32_e32 v7, 0x3f167918, v1
	v_sub_f32_e32 v26, v8, v14
	v_fmac_f32_e32 v49, 0xbf737871, v1
	v_add_f32_e32 v1, v9, v11
	v_fmac_f32_e32 v12, 0x3e9e377a, v2
	v_fmac_f32_e32 v7, 0x3e9e377a, v2
	v_add_f32_e32 v2, v5, v0
	v_fmac_f32_e32 v18, 0xbf167918, v6
	v_add_f32_e32 v4, v25, v26
	v_fmac_f32_e32 v49, 0x3f167918, v6
	v_fma_f32 v1, -0.5, v1, v3
	v_sub_f32_e32 v6, v29, v14
	v_add_f32_e32 v14, v3, v5
	v_sub_f32_e32 v8, v48, v8
	v_fmac_f32_e32 v3, -0.5, v2
	v_fmac_f32_e32 v18, 0x3e9e377a, v4
	v_fmac_f32_e32 v49, 0x3e9e377a, v4
	v_fmamk_f32 v25, v6, 0x3f737871, v1
	v_sub_f32_e32 v2, v5, v9
	v_sub_f32_e32 v4, v0, v11
	v_fmamk_f32 v26, v8, 0xbf737871, v3
	v_sub_f32_e32 v5, v9, v5
	v_sub_f32_e32 v27, v11, v0
	v_fmac_f32_e32 v3, 0x3f737871, v8
	v_fmac_f32_e32 v1, 0xbf737871, v6
	;; [unrolled: 1-line block ×3, first 2 shown]
	v_add_f32_e32 v2, v2, v4
	v_fmac_f32_e32 v26, 0x3f167918, v6
	v_add_f32_e32 v4, v5, v27
	v_fmac_f32_e32 v3, 0xbf167918, v6
	v_fmac_f32_e32 v1, 0xbf167918, v8
	v_add_f32_e32 v5, v14, v9
	v_fmac_f32_e32 v25, 0x3e9e377a, v2
	v_fmac_f32_e32 v26, 0x3e9e377a, v4
	;; [unrolled: 1-line block ×4, first 2 shown]
	v_add_f32_e32 v4, v5, v11
	v_mul_f32_e32 v11, 0xbf167918, v25
	v_mul_f32_e32 v25, 0x3f4f1bbd, v25
	v_mul_f32_e32 v14, 0xbf737871, v26
	v_mul_f32_e32 v27, 0xbf737871, v3
	v_mul_f32_e32 v26, 0x3e9e377a, v26
	v_mul_f32_e32 v30, 0xbe9e377a, v3
	v_mul_f32_e32 v29, 0xbf167918, v1
	v_mul_f32_e32 v31, 0xbf4f1bbd, v1
	v_add_f32_e32 v28, v4, v0
	v_fmac_f32_e32 v11, 0x3f4f1bbd, v12
	v_fmac_f32_e32 v25, 0x3f167918, v12
	;; [unrolled: 1-line block ×8, first 2 shown]
	v_add_f32_e32 v0, v15, v10
	v_add_f32_e32 v2, v16, v11
	;; [unrolled: 1-line block ×10, first 2 shown]
	v_sub_f32_e32 v10, v15, v10
	v_sub_f32_e32 v12, v16, v11
	;; [unrolled: 1-line block ×4, first 2 shown]
	v_add_nc_u32_e32 v20, 0x400, v107
	v_sub_f32_e32 v14, v21, v14
	v_sub_f32_e32 v13, v13, v25
	;; [unrolled: 1-line block ×3, first 2 shown]
	v_add_nc_u32_e32 v21, 0x800, v107
	v_sub_f32_e32 v16, v19, v29
	v_sub_f32_e32 v19, v17, v30
	;; [unrolled: 1-line block ×3, first 2 shown]
	v_add_nc_u32_e32 v22, 0xc00, v107
	ds_write2_b64 v107, v[0:1], v[2:3] offset1:60
	ds_write2_b64 v107, v[4:5], v[6:7] offset0:120 offset1:180
	ds_write2_b64 v20, v[8:9], v[10:11] offset0:112 offset1:172
	;; [unrolled: 1-line block ×4, first 2 shown]
	v_add_nc_u32_e32 v0, 0xb00, v99
	v_add_nc_u32_e32 v8, 0x2400, v99
	;; [unrolled: 1-line block ×3, first 2 shown]
	s_waitcnt lgkmcnt(0)
	s_barrier
	buffer_gl0_inv
	ds_read2_b64 v[4:7], v99 offset1:180
	ds_read2_b64 v[0:3], v0 offset0:8 offset1:248
	ds_read2_b64 v[12:15], v8 offset0:48 offset1:228
	;; [unrolled: 1-line block ×3, first 2 shown]
	ds_read_b64 v[18:19], v99 offset:12480
	s_and_saveexec_b32 s1, s0
	s_cbranch_execz .LBB0_15
; %bb.14:
	ds_read_b64 v[16:17], v99 offset:4320
	ds_read_b64 v[50:51], v99 offset:9120
	;; [unrolled: 1-line block ×3, first 2 shown]
.LBB0_15:
	s_or_b32 exec_lo, exec_lo, s1
	s_waitcnt lgkmcnt(3)
	v_mul_f32_e32 v21, v45, v3
	v_mul_f32_e32 v22, v45, v2
	s_waitcnt lgkmcnt(2)
	v_mul_f32_e32 v23, v47, v13
	v_mul_f32_e32 v24, v47, v12
	s_waitcnt lgkmcnt(1)
	v_mul_f32_e32 v25, v41, v11
	v_fmac_f32_e32 v21, v44, v2
	v_fma_f32 v3, v44, v3, -v22
	v_mul_f32_e32 v22, v37, v9
	v_mul_f32_e32 v2, v37, v8
	v_fmac_f32_e32 v23, v46, v12
	v_fma_f32 v12, v46, v13, -v24
	v_mul_f32_e32 v13, v39, v15
	v_fmac_f32_e32 v22, v36, v8
	v_mul_f32_e32 v8, v39, v14
	v_fma_f32 v24, v36, v9, -v2
	v_mul_f32_e32 v2, v41, v10
	v_fmac_f32_e32 v13, v38, v14
	v_fmac_f32_e32 v25, v40, v10
	v_fma_f32 v14, v38, v15, -v8
	s_waitcnt lgkmcnt(0)
	v_mul_f32_e32 v8, v43, v18
	v_fma_f32 v26, v40, v11, -v2
	v_add_f32_e32 v2, v21, v23
	v_mul_f32_e32 v15, v43, v19
	v_add_f32_e32 v9, v4, v21
	v_fma_f32 v19, v42, v19, -v8
	v_add_f32_e32 v8, v3, v12
	v_fma_f32 v2, -0.5, v2, v4
	v_sub_f32_e32 v10, v3, v12
	v_add_f32_e32 v4, v9, v23
	v_add_f32_e32 v9, v5, v3
	v_fma_f32 v3, -0.5, v8, v5
	v_sub_f32_e32 v11, v21, v23
	v_fmamk_f32 v8, v10, 0xbf5db3d7, v2
	v_fmac_f32_e32 v2, 0x3f5db3d7, v10
	v_add_f32_e32 v10, v22, v13
	v_fmac_f32_e32 v15, v42, v18
	v_add_f32_e32 v5, v9, v12
	v_fmamk_f32 v9, v11, 0x3f5db3d7, v3
	v_add_f32_e32 v12, v6, v22
	v_fmac_f32_e32 v3, 0xbf5db3d7, v11
	v_add_f32_e32 v11, v24, v14
	v_fma_f32 v6, -0.5, v10, v6
	v_sub_f32_e32 v18, v24, v14
	v_add_f32_e32 v21, v7, v24
	v_add_f32_e32 v10, v12, v13
	v_fmac_f32_e32 v7, -0.5, v11
	v_sub_f32_e32 v22, v22, v13
	v_fmamk_f32 v12, v18, 0xbf5db3d7, v6
	v_fmac_f32_e32 v6, 0x3f5db3d7, v18
	v_add_f32_e32 v11, v21, v14
	v_add_f32_e32 v14, v25, v15
	;; [unrolled: 1-line block ×5, first 2 shown]
	v_fmamk_f32 v13, v22, 0x3f5db3d7, v7
	v_fmac_f32_e32 v7, 0xbf5db3d7, v22
	v_fma_f32 v0, -0.5, v14, v0
	v_sub_f32_e32 v22, v26, v19
	v_fmac_f32_e32 v1, -0.5, v18
	v_sub_f32_e32 v24, v25, v15
	v_add_f32_e32 v14, v21, v15
	v_add_f32_e32 v15, v23, v19
	v_fmamk_f32 v18, v22, 0xbf5db3d7, v0
	v_fmac_f32_e32 v0, 0x3f5db3d7, v22
	v_fmamk_f32 v19, v24, 0x3f5db3d7, v1
	v_fmac_f32_e32 v1, 0xbf5db3d7, v24
	ds_write_b64 v99, v[8:9] offset:4800
	ds_write_b64 v99, v[2:3] offset:9600
	ds_write2_b64 v99, v[4:5], v[10:11] offset1:180
	ds_write_b64 v99, v[6:7] offset:11040
	ds_write_b64 v99, v[14:15] offset:2880
	ds_write2_b64 v20, v[12:13], v[18:19] offset0:12 offset1:192
	ds_write_b64 v99, v[0:1] offset:12480
	s_and_saveexec_b32 s1, s0
	s_cbranch_execz .LBB0_17
; %bb.16:
	v_mul_f32_e32 v0, v33, v50
	v_mul_f32_e32 v1, v35, v52
	;; [unrolled: 1-line block ×4, first 2 shown]
	v_fma_f32 v0, v32, v51, -v0
	v_fma_f32 v3, v34, v53, -v1
	v_fmac_f32_e32 v2, v32, v50
	v_fmac_f32_e32 v4, v34, v52
	v_add_f32_e32 v7, v17, v0
	v_add_f32_e32 v1, v0, v3
	v_sub_f32_e32 v8, v0, v3
	v_add_f32_e32 v5, v2, v4
	v_sub_f32_e32 v6, v2, v4
	v_add_f32_e32 v2, v16, v2
	v_fma_f32 v1, -0.5, v1, v17
	v_add_f32_e32 v3, v7, v3
	v_fma_f32 v0, -0.5, v5, v16
	v_add_f32_e32 v2, v2, v4
	v_fmamk_f32 v5, v6, 0xbf5db3d7, v1
	v_fmac_f32_e32 v1, 0x3f5db3d7, v6
	v_fmamk_f32 v4, v8, 0x3f5db3d7, v0
	v_fmac_f32_e32 v0, 0xbf5db3d7, v8
	ds_write_b64 v99, v[2:3] offset:4320
	ds_write_b64 v99, v[0:1] offset:9120
	;; [unrolled: 1-line block ×3, first 2 shown]
.LBB0_17:
	s_or_b32 exec_lo, exec_lo, s1
	s_waitcnt lgkmcnt(0)
	s_barrier
	buffer_gl0_inv
	ds_read2_b64 v[0:3], v99 offset1:180
	v_mad_u64_u32 v[12:13], null, s10, v64, 0
	v_mad_u64_u32 v[14:15], null, s8, v100, 0
	v_add_nc_u32_e32 v4, 0xa00, v99
	v_add_nc_u32_e32 v10, 0x1600, v99
	s_mov_b32 s0, 0x789abcdf
	s_mov_b32 s1, 0x3f423456
	v_mov_b32_e32 v8, v13
	ds_read2_b64 v[4:7], v4 offset0:40 offset1:220
	v_mov_b32_e32 v9, v15
	s_mul_i32 s2, s9, 0x5a0
	s_mul_hi_u32 s3, s8, 0x5a0
	s_mul_i32 s6, s8, 0x5a0
	s_add_i32 s3, s3, s2
	v_mad_u64_u32 v[24:25], null, s9, v100, v[9:10]
	s_waitcnt lgkmcnt(1)
	v_mul_f32_e32 v11, v66, v1
	v_mul_f32_e32 v13, v66, v0
	;; [unrolled: 1-line block ×4, first 2 shown]
	v_fmac_f32_e32 v11, v65, v0
	v_fma_f32 v0, v65, v1, -v13
	v_fma_f32 v1, v69, v3, -v16
	v_mad_u64_u32 v[15:16], null, s11, v64, v[8:9]
	v_fmac_f32_e32 v20, v69, v2
	v_cvt_f64_f32_e32 v[16:17], v11
	v_cvt_f64_f32_e32 v[18:19], v0
	;; [unrolled: 1-line block ×3, first 2 shown]
	s_waitcnt lgkmcnt(0)
	v_mul_f32_e32 v25, v84, v4
	v_cvt_f64_f32_e32 v[20:21], v20
	v_mov_b32_e32 v13, v15
	v_mov_b32_e32 v15, v24
	v_mul_f32_e32 v24, v84, v5
	v_add_nc_u32_e32 v8, 0x2000, v99
	v_mul_f32_e32 v26, v82, v7
	v_mul_f32_e32 v27, v82, v6
	v_fma_f32 v25, v83, v5, -v25
	v_fmac_f32_e32 v24, v83, v4
	ds_read2_b64 v[0:3], v10 offset0:16 offset1:196
	ds_read2_b64 v[8:11], v8 offset0:56 offset1:236
	v_fmac_f32_e32 v26, v81, v6
	v_fma_f32 v27, v81, v7, -v27
	v_lshlrev_b64 v[12:13], 3, v[12:13]
	v_cvt_f64_f32_e32 v[6:7], v24
	v_lshlrev_b64 v[14:15], 3, v[14:15]
	v_mul_f64 v[4:5], v[16:17], s[0:1]
	v_mul_f64 v[16:17], v[18:19], s[0:1]
	;; [unrolled: 1-line block ×4, first 2 shown]
	v_cvt_f64_f32_e32 v[22:23], v25
	v_cvt_f64_f32_e32 v[24:25], v26
	v_add_co_u32 v26, vcc_lo, s4, v12
	v_add_co_ci_u32_e32 v28, vcc_lo, s5, v13, vcc_lo
	v_cvt_f64_f32_e32 v[12:13], v27
	v_add_co_u32 v14, vcc_lo, v26, v14
	v_add_co_ci_u32_e32 v15, vcc_lo, v28, v15, vcc_lo
	s_waitcnt lgkmcnt(1)
	v_mul_f32_e32 v30, v76, v1
	s_waitcnt lgkmcnt(0)
	v_mul_f32_e32 v34, v68, v11
	v_mul_f32_e32 v32, v80, v9
	;; [unrolled: 1-line block ×3, first 2 shown]
	v_add_co_u32 v26, vcc_lo, v14, s6
	v_cvt_f32_f64_e32 v28, v[4:5]
	v_mul_f32_e32 v4, v76, v0
	v_add_nc_u32_e32 v5, 0x2c00, v99
	v_cvt_f32_f64_e32 v29, v[16:17]
	v_cvt_f32_f64_e32 v16, v[18:19]
	v_mul_f64 v[18:19], v[6:7], s[0:1]
	v_fma_f32 v31, v75, v1, -v4
	ds_read2_b64 v[4:7], v5 offset0:32 offset1:212
	v_fmac_f32_e32 v30, v75, v0
	v_cvt_f32_f64_e32 v17, v[20:21]
	v_mul_f64 v[20:21], v[22:23], s[0:1]
	v_mul_f64 v[0:1], v[24:25], s[0:1]
	v_cvt_f64_f32_e32 v[24:25], v31
	v_cvt_f64_f32_e32 v[22:23], v30
	v_mul_f32_e32 v30, v78, v3
	v_mul_f32_e32 v31, v78, v2
	v_fmac_f32_e32 v34, v67, v10
	v_mul_f32_e32 v10, v68, v10
	v_fmac_f32_e32 v32, v79, v8
	v_fmac_f32_e32 v30, v77, v2
	v_fma_f32 v31, v77, v3, -v31
	v_fma_f32 v33, v79, v9, -v33
	;; [unrolled: 1-line block ×3, first 2 shown]
	v_mul_f64 v[12:13], v[12:13], s[0:1]
	v_cvt_f64_f32_e32 v[2:3], v30
	v_cvt_f64_f32_e32 v[8:9], v31
	;; [unrolled: 1-line block ×3, first 2 shown]
	s_waitcnt lgkmcnt(0)
	v_mul_f32_e32 v36, v72, v5
	v_mul_f32_e32 v37, v72, v4
	;; [unrolled: 1-line block ×4, first 2 shown]
	v_cvt_f64_f32_e32 v[32:33], v33
	v_fmac_f32_e32 v36, v71, v4
	v_fma_f32 v11, v71, v5, -v37
	v_fmac_f32_e32 v38, v73, v6
	v_fma_f32 v39, v73, v7, -v39
	v_cvt_f64_f32_e32 v[34:35], v34
	v_cvt_f64_f32_e32 v[4:5], v10
	;; [unrolled: 1-line block ×6, first 2 shown]
	v_add_co_ci_u32_e32 v27, vcc_lo, s3, v15, vcc_lo
	global_store_dwordx2 v[14:15], v[28:29], off
	global_store_dwordx2 v[26:27], v[16:17], off
	v_cvt_f32_f64_e32 v14, v[18:19]
	v_mul_f64 v[16:17], v[22:23], s[0:1]
	v_mul_f64 v[18:19], v[24:25], s[0:1]
	;; [unrolled: 1-line block ×4, first 2 shown]
	v_cvt_f32_f64_e32 v0, v[0:1]
	v_cvt_f32_f64_e32 v1, v[12:13]
	v_mul_f64 v[12:13], v[30:31], s[0:1]
	v_mul_f64 v[22:23], v[32:33], s[0:1]
	v_cvt_f32_f64_e32 v15, v[20:21]
	v_add_co_u32 v20, vcc_lo, v26, s6
	v_mul_f64 v[24:25], v[34:35], s[0:1]
	v_mul_f64 v[4:5], v[4:5], s[0:1]
	;; [unrolled: 1-line block ×4, first 2 shown]
	v_add_co_ci_u32_e32 v21, vcc_lo, s3, v27, vcc_lo
	v_mul_f64 v[26:27], v[36:37], s[0:1]
	v_mul_f64 v[28:29], v[38:39], s[0:1]
	v_add_co_u32 v30, vcc_lo, v20, s6
	v_add_co_ci_u32_e32 v31, vcc_lo, s3, v21, vcc_lo
	v_cvt_f32_f64_e32 v16, v[16:17]
	v_cvt_f32_f64_e32 v17, v[18:19]
	v_add_co_u32 v18, vcc_lo, v30, s6
	v_add_co_ci_u32_e32 v19, vcc_lo, s3, v31, vcc_lo
	v_cvt_f32_f64_e32 v2, v[2:3]
	v_cvt_f32_f64_e32 v3, v[8:9]
	;; [unrolled: 4-line block ×3, first 2 shown]
	v_cvt_f32_f64_e32 v22, v[24:25]
	v_cvt_f32_f64_e32 v23, v[4:5]
	;; [unrolled: 1-line block ×6, first 2 shown]
	v_add_co_u32 v10, vcc_lo, v8, s6
	v_add_co_ci_u32_e32 v11, vcc_lo, s3, v9, vcc_lo
	global_store_dwordx2 v[20:21], v[14:15], off
	v_add_co_u32 v14, vcc_lo, v10, s6
	v_add_co_ci_u32_e32 v15, vcc_lo, s3, v11, vcc_lo
	global_store_dwordx2 v[30:31], v[0:1], off
	;; [unrolled: 3-line block ×4, first 2 shown]
	global_store_dwordx2 v[10:11], v[12:13], off
	global_store_dwordx2 v[14:15], v[22:23], off
	;; [unrolled: 1-line block ×4, first 2 shown]
.LBB0_18:
	s_endpgm
	.section	.rodata,"a",@progbits
	.p2align	6, 0x0
	.amdhsa_kernel bluestein_single_fwd_len1800_dim1_sp_op_CI_CI
		.amdhsa_group_segment_fixed_size 14400
		.amdhsa_private_segment_fixed_size 0
		.amdhsa_kernarg_size 104
		.amdhsa_user_sgpr_count 6
		.amdhsa_user_sgpr_private_segment_buffer 1
		.amdhsa_user_sgpr_dispatch_ptr 0
		.amdhsa_user_sgpr_queue_ptr 0
		.amdhsa_user_sgpr_kernarg_segment_ptr 1
		.amdhsa_user_sgpr_dispatch_id 0
		.amdhsa_user_sgpr_flat_scratch_init 0
		.amdhsa_user_sgpr_private_segment_size 0
		.amdhsa_wavefront_size32 1
		.amdhsa_uses_dynamic_stack 0
		.amdhsa_system_sgpr_private_segment_wavefront_offset 0
		.amdhsa_system_sgpr_workgroup_id_x 1
		.amdhsa_system_sgpr_workgroup_id_y 0
		.amdhsa_system_sgpr_workgroup_id_z 0
		.amdhsa_system_sgpr_workgroup_info 0
		.amdhsa_system_vgpr_workitem_id 0
		.amdhsa_next_free_vgpr 138
		.amdhsa_next_free_sgpr 20
		.amdhsa_reserve_vcc 1
		.amdhsa_reserve_flat_scratch 0
		.amdhsa_float_round_mode_32 0
		.amdhsa_float_round_mode_16_64 0
		.amdhsa_float_denorm_mode_32 3
		.amdhsa_float_denorm_mode_16_64 3
		.amdhsa_dx10_clamp 1
		.amdhsa_ieee_mode 1
		.amdhsa_fp16_overflow 0
		.amdhsa_workgroup_processor_mode 1
		.amdhsa_memory_ordered 1
		.amdhsa_forward_progress 0
		.amdhsa_shared_vgpr_count 0
		.amdhsa_exception_fp_ieee_invalid_op 0
		.amdhsa_exception_fp_denorm_src 0
		.amdhsa_exception_fp_ieee_div_zero 0
		.amdhsa_exception_fp_ieee_overflow 0
		.amdhsa_exception_fp_ieee_underflow 0
		.amdhsa_exception_fp_ieee_inexact 0
		.amdhsa_exception_int_div_zero 0
	.end_amdhsa_kernel
	.text
.Lfunc_end0:
	.size	bluestein_single_fwd_len1800_dim1_sp_op_CI_CI, .Lfunc_end0-bluestein_single_fwd_len1800_dim1_sp_op_CI_CI
                                        ; -- End function
	.section	.AMDGPU.csdata,"",@progbits
; Kernel info:
; codeLenInByte = 10844
; NumSgprs: 22
; NumVgprs: 138
; ScratchSize: 0
; MemoryBound: 0
; FloatMode: 240
; IeeeMode: 1
; LDSByteSize: 14400 bytes/workgroup (compile time only)
; SGPRBlocks: 2
; VGPRBlocks: 17
; NumSGPRsForWavesPerEU: 22
; NumVGPRsForWavesPerEU: 138
; Occupancy: 7
; WaveLimiterHint : 1
; COMPUTE_PGM_RSRC2:SCRATCH_EN: 0
; COMPUTE_PGM_RSRC2:USER_SGPR: 6
; COMPUTE_PGM_RSRC2:TRAP_HANDLER: 0
; COMPUTE_PGM_RSRC2:TGID_X_EN: 1
; COMPUTE_PGM_RSRC2:TGID_Y_EN: 0
; COMPUTE_PGM_RSRC2:TGID_Z_EN: 0
; COMPUTE_PGM_RSRC2:TIDIG_COMP_CNT: 0
	.text
	.p2alignl 6, 3214868480
	.fill 48, 4, 3214868480
	.type	__hip_cuid_8d2ba0739de43f54,@object ; @__hip_cuid_8d2ba0739de43f54
	.section	.bss,"aw",@nobits
	.globl	__hip_cuid_8d2ba0739de43f54
__hip_cuid_8d2ba0739de43f54:
	.byte	0                               ; 0x0
	.size	__hip_cuid_8d2ba0739de43f54, 1

	.ident	"AMD clang version 19.0.0git (https://github.com/RadeonOpenCompute/llvm-project roc-6.4.0 25133 c7fe45cf4b819c5991fe208aaa96edf142730f1d)"
	.section	".note.GNU-stack","",@progbits
	.addrsig
	.addrsig_sym __hip_cuid_8d2ba0739de43f54
	.amdgpu_metadata
---
amdhsa.kernels:
  - .args:
      - .actual_access:  read_only
        .address_space:  global
        .offset:         0
        .size:           8
        .value_kind:     global_buffer
      - .actual_access:  read_only
        .address_space:  global
        .offset:         8
        .size:           8
        .value_kind:     global_buffer
      - .actual_access:  read_only
        .address_space:  global
        .offset:         16
        .size:           8
        .value_kind:     global_buffer
      - .actual_access:  read_only
        .address_space:  global
        .offset:         24
        .size:           8
        .value_kind:     global_buffer
      - .actual_access:  read_only
        .address_space:  global
        .offset:         32
        .size:           8
        .value_kind:     global_buffer
      - .offset:         40
        .size:           8
        .value_kind:     by_value
      - .address_space:  global
        .offset:         48
        .size:           8
        .value_kind:     global_buffer
      - .address_space:  global
        .offset:         56
        .size:           8
        .value_kind:     global_buffer
      - .address_space:  global
        .offset:         64
        .size:           8
        .value_kind:     global_buffer
      - .address_space:  global
        .offset:         72
        .size:           8
        .value_kind:     global_buffer
      - .offset:         80
        .size:           4
        .value_kind:     by_value
      - .address_space:  global
        .offset:         88
        .size:           8
        .value_kind:     global_buffer
      - .address_space:  global
        .offset:         96
        .size:           8
        .value_kind:     global_buffer
    .group_segment_fixed_size: 14400
    .kernarg_segment_align: 8
    .kernarg_segment_size: 104
    .language:       OpenCL C
    .language_version:
      - 2
      - 0
    .max_flat_workgroup_size: 180
    .name:           bluestein_single_fwd_len1800_dim1_sp_op_CI_CI
    .private_segment_fixed_size: 0
    .sgpr_count:     22
    .sgpr_spill_count: 0
    .symbol:         bluestein_single_fwd_len1800_dim1_sp_op_CI_CI.kd
    .uniform_work_group_size: 1
    .uses_dynamic_stack: false
    .vgpr_count:     138
    .vgpr_spill_count: 0
    .wavefront_size: 32
    .workgroup_processor_mode: 1
amdhsa.target:   amdgcn-amd-amdhsa--gfx1030
amdhsa.version:
  - 1
  - 2
...

	.end_amdgpu_metadata
